;; amdgpu-corpus repo=zjin-lcf/HeCBench kind=compiled arch=gfx1250 opt=O3
	.amdgcn_target "amdgcn-amd-amdhsa--gfx1250"
	.amdhsa_code_object_version 6
	.text
	.protected	_Z9conv_rowsPfPKfS1_iii ; -- Begin function _Z9conv_rowsPfPKfS1_iii
	.globl	_Z9conv_rowsPfPKfS1_iii
	.p2align	8
	.type	_Z9conv_rowsPfPKfS1_iii,@function
_Z9conv_rowsPfPKfS1_iii:                ; @_Z9conv_rowsPfPKfS1_iii
; %bb.0:
	s_load_b32 s2, s[0:1], 0x20
	s_bfe_u32 s3, ttmp6, 0x4000c
	s_bfe_u32 s5, ttmp6, 0x40010
	s_add_co_i32 s3, s3, 1
	s_and_b32 s4, ttmp6, 15
	s_mul_i32 s3, ttmp9, s3
	s_add_co_i32 s5, s5, 1
	s_add_co_i32 s3, s4, s3
	s_mul_i32 s4, ttmp7, s5
	s_bfe_u32 s5, ttmp6, 0x40004
	s_getreg_b32 s6, hwreg(HW_REG_IB_STS2, 6, 4)
	s_add_co_i32 s8, s5, s4
	s_cmp_eq_u32 s6, 0
	v_and_b32_e32 v1, 0x3ff, v0
	v_bfe_u32 v2, v0, 10, 10
	s_load_b128 s[4:7], s[0:1], 0x8
	s_cselect_b32 s3, ttmp9, s3
	s_cselect_b32 s8, ttmp7, s8
	s_lshl_b32 s3, s3, 7
	v_lshl_add_u32 v0, s8, 2, v2
	v_add3_u32 v4, v1, s3, -16
	v_dual_mov_b32 v5, 0 :: v_dual_mov_b32 v6, 0
	s_wait_kmcnt 0x0
	s_delay_alu instid0(VALU_DEP_2)
	v_mad_u32 v0, s2, v0, v4
	v_lshlrev_b32_e32 v3, 2, v1
	s_mov_b32 s2, exec_lo
	s_clause 0x7
	global_load_b32 v7, v0, s[4:5] offset:64 scale_offset
	global_load_b32 v8, v0, s[4:5] offset:128 scale_offset
	;; [unrolled: 1-line block ×8, first 2 shown]
	v_ashrrev_i32_e32 v1, 31, v0
	v_mad_u32_u24 v20, 0x280, v2, v3
	s_wait_loadcnt 0x6
	ds_store_2addr_b32 v20, v7, v8 offset0:16 offset1:32
	s_wait_loadcnt 0x4
	ds_store_2addr_b32 v20, v9, v10 offset0:48 offset1:64
	;; [unrolled: 2-line block ×4, first 2 shown]
	v_lshl_add_u64 v[2:3], v[0:1], 2, s[4:5]
	v_cmpx_lt_i32_e32 -1, v4
	s_cbranch_execz .LBB0_2
; %bb.1:
	global_load_b32 v6, v[2:3], off
.LBB0_2:
	s_wait_xcnt 0x0
	s_or_b32 exec_lo, exec_lo, s2
	s_clause 0x1
	s_load_b32 s2, s[0:1], 0x18
	s_load_b64 s[16:17], s[0:1], 0x0
	v_add_nc_u32_e32 v4, 0x90, v4
	s_wait_xcnt 0x0
	s_mov_b32 s0, exec_lo
	s_wait_loadcnt 0x0
	ds_store_b32 v20, v6
	s_wait_kmcnt 0x0
	v_cmpx_gt_i32_e64 s2, v4
	s_cbranch_execz .LBB0_4
; %bb.3:
	global_load_b32 v5, v[2:3], off offset:576
.LBB0_4:
	s_wait_xcnt 0x0
	s_or_b32 exec_lo, exec_lo, s0
	s_wait_loadcnt 0x0
	ds_store_b32 v20, v5 offset:576
	s_wait_dscnt 0x0
	s_barrier_signal -1
	s_barrier_wait -1
	s_load_b64 s[14:15], s[6:7], 0x3c
	ds_load_2addr_b32 v[8:9], v20 offset0:8 offset1:9
	s_clause 0x2
	s_load_b64 s[12:13], s[6:7], 0x38
	s_load_b64 s[0:1], s[6:7], 0x4
	s_load_b64 s[2:3], s[6:7], 0x8
	ds_load_2addr_b32 v[2:3], v20 offset0:24 offset1:25
	s_clause 0x1
	s_load_b64 s[22:23], s[6:7], 0x3c
	s_load_b64 s[20:21], s[6:7], 0x34
	ds_load_2addr_b32 v[10:11], v20 offset0:10 offset1:11
	s_clause 0x3
	s_load_b64 s[4:5], s[6:7], 0x10
	s_load_b64 s[8:9], s[6:7], 0x14
	;; [unrolled: 1-line block ×4, first 2 shown]
	ds_load_2addr_b32 v[6:7], v20 offset0:12 offset1:13
	ds_load_2addr_b32 v[4:5], v20 offset0:14 offset1:15
	s_clause 0x1
	s_load_b32 s33, s[6:7], 0x38
	s_load_b32 s42, s[6:7], 0x38
	ds_load_2addr_b32 v[24:25], v20 offset0:26 offset1:27
	s_load_b64 s[26:27], s[6:7], 0x2c
	v_lshl_add_u64 v[0:1], v[0:1], 2, s[16:17]
	s_wait_dscnt 0x5
	s_wait_kmcnt 0x0
	v_fma_f32 v21, s15, v8, 0
	s_clause 0x1
	s_load_b32 s44, s[6:7], 0x34
	s_load_b32 s15, s[6:7], 0x34
	s_wait_dscnt 0x4
	v_fma_f32 v22, s23, v2, 0
	v_fmac_f32_e32 v21, s13, v9
	ds_load_2addr_b32 v[14:15], v20 offset0:28 offset1:29
	ds_load_2addr_b32 v[12:13], v20 offset0:30 offset1:31
	;; [unrolled: 1-line block ×3, first 2 shown]
	s_clause 0x2
	s_load_b64 s[24:25], s[6:7], 0x20
	s_load_b64 s[30:31], s[6:7], 0x28
	s_load_b32 s46, s[6:7], 0x3c
	s_wait_dscnt 0x6
	v_dual_fmac_f32 v22, s13, v3 :: v_dual_fmac_f32 v21, s21, v10
	ds_load_2addr_b32 v[18:19], v20 offset0:42 offset1:43
	s_clause 0x4
	s_load_b32 s43, s[6:7], 0x2c
	s_load_b32 s45, s[6:7], 0x30
	s_load_b32 s41, s[6:7], 0x30
	s_load_b32 s40, s[6:7], 0x2c
	s_load_b64 s[28:29], s[6:7], 0x24
	s_wait_dscnt 0x4
	v_dual_fmac_f32 v22, s21, v24 :: v_dual_fmac_f32 v21, s19, v11
	s_clause 0x1
	s_load_b32 s21, s[6:7], 0x28
	s_load_b32 s13, s[6:7], 0x28
	ds_load_2addr_b32 v[16:17], v20 offset0:44 offset1:45
	ds_load_2addr_b32 v[10:11], v20 offset0:46 offset1:47
	v_fmac_f32_e32 v22, s19, v25
	s_wait_dscnt 0x5
	s_delay_alu instid0(VALU_DEP_1)
	v_fmac_f32_e32 v22, s27, v14
	s_wait_dscnt 0x3
	v_fma_f32 v23, s23, v8, 0
	v_fmac_f32_e32 v21, s27, v6
	s_clause 0x3
	s_load_b32 s19, s[6:7], 0x40
	s_load_b32 s23, s[6:7], 0x40
	;; [unrolled: 1-line block ×3, first 2 shown]
	s_load_b64 s[34:35], s[6:7], 0x1c
	ds_load_2addr_b32 v[24:25], v20 offset0:16 offset1:17
	s_wait_kmcnt 0x0
	v_dual_fmac_f32 v23, s46, v9 :: v_dual_fmac_f32 v21, s31, v7
	s_clause 0x3
	s_load_b32 s27, s[6:7], 0x20
	s_load_b32 s48, s[6:7], 0x24
	;; [unrolled: 1-line block ×4, first 2 shown]
	ds_load_2addr_b32 v[6:7], v20 offset0:32 offset1:33
	s_wait_dscnt 0x4
	v_dual_fmac_f32 v23, s33, v18 :: v_dual_fmac_f32 v21, s29, v4
	v_fmac_f32_e32 v22, s31, v15
	s_clause 0x1
	s_load_b32 s31, s[6:7], 0x1c
	s_load_b32 s51, s[6:7], 0x1c
	v_dual_fmac_f32 v21, s25, v5 :: v_dual_fmac_f32 v23, s44, v19
	v_fmac_f32_e32 v22, s29, v12
	ds_load_2addr_b32 v[4:5], v20 offset0:18 offset1:19
	ds_load_2addr_b32 v[14:15], v20 offset0:20 offset1:21
	;; [unrolled: 1-line block ×3, first 2 shown]
	s_wait_dscnt 0x6
	v_dual_fmac_f32 v23, s45, v16 :: v_dual_fmac_f32 v22, s25, v13
	ds_load_2addr_b32 v[12:13], v20 offset0:34 offset1:35
	s_wait_dscnt 0x5
	v_dual_fmac_f32 v21, s35, v24 :: v_dual_fmac_f32 v23, s43, v17
	ds_load_2addr_b32 v[16:17], v20 offset0:48 offset1:49
	s_clause 0x3
	s_load_b32 s25, s[6:7], 0x14
	s_load_b32 s29, s[6:7], 0x18
	;; [unrolled: 1-line block ×4, first 2 shown]
	s_wait_dscnt 0x5
	v_dual_fmac_f32 v21, s11, v25 :: v_dual_fmac_f32 v22, s35, v6
	ds_load_2addr_b32 v[24:25], v20 offset0:36 offset1:37
	ds_load_2addr_b32 v[26:27], v20 offset0:38 offset1:39
	;; [unrolled: 1-line block ×3, first 2 shown]
	s_clause 0x2
	s_load_b32 s35, s[6:7], 0x10
	s_load_b32 s54, s[6:7], 0x10
	s_load_b64 s[38:39], s[6:7], 0xc
	s_wait_dscnt 0x7
	v_dual_fmac_f32 v23, s21, v10 :: v_dual_fmac_f32 v21, s9, v4
	v_fmac_f32_e32 v22, s11, v7
	ds_load_2addr_b32 v[6:7], v20 offset0:50 offset1:51
	s_wait_kmcnt 0x0
	v_dual_fmac_f32 v21, s5, v5 :: v_dual_fmac_f32 v23, s48, v11
	s_wait_dscnt 0x5
	v_fmac_f32_e32 v22, s9, v12
	ds_load_2addr_b32 v[10:11], v20 offset0:52 offset1:53
	ds_load_2addr_b32 v[30:31], v20 offset0:54 offset1:55
	s_clause 0x1
	s_load_b32 s9, s[6:7], 0x0
	s_load_b64 s[36:37], s[6:7], 0x0
	ds_load_2addr_b32 v[32:33], v20 offset0:58 offset1:59
	s_wait_dscnt 0x7
	v_dual_fmac_f32 v23, s27, v16 :: v_dual_fmac_f32 v22, s5, v13
	s_delay_alu instid0(VALU_DEP_1)
	v_fmac_f32_e32 v23, s31, v17
	s_wait_dscnt 0x4
	v_fma_f32 v54, s19, v28, 0
	ds_load_2addr_b32 v[12:13], v20 offset0:60 offset1:61
	ds_load_2addr_b32 v[16:17], v20 offset0:62 offset1:63
	s_clause 0x3
	s_load_b32 s5, s[6:7], 0x8
	s_load_b32 s11, s[6:7], 0xc
	;; [unrolled: 1-line block ×4, first 2 shown]
	v_dual_fmac_f32 v21, s39, v14 :: v_dual_fmac_f32 v22, s39, v24
	s_wait_dscnt 0x5
	v_fmac_f32_e32 v23, s29, v6
	ds_load_2addr_b32 v[4:5], v20 offset0:72 offset1:73
	v_dual_fmac_f32 v54, s46, v29 :: v_dual_fmac_f32 v21, s3, v15
	v_dual_fmac_f32 v22, s3, v25 :: v_dual_fmac_f32 v23, s25, v7
	s_clause 0x1
	s_load_b32 s39, s[6:7], 0x4
	s_load_b32 s46, s[6:7], 0x4
	ds_load_2addr_b32 v[14:15], v20 offset0:74 offset1:75
	s_wait_dscnt 0x4
	v_dual_fmac_f32 v54, s33, v32 :: v_dual_fmac_f32 v21, s1, v18
	v_fmac_f32_e32 v22, s1, v26
	s_clause 0x1
	s_load_b32 s1, s[6:7], 0x0
	s_load_b32 s3, s[6:7], 0x0
	ds_load_2addr_b32 v[6:7], v20 offset0:88 offset1:89
	v_dual_fmac_f32 v23, s35, v10 :: v_dual_fmac_f32 v54, s44, v33
	s_wait_kmcnt 0x0
	v_fmac_f32_e32 v21, s37, v19
	v_fmac_f32_e32 v22, s37, v27
	s_wait_dscnt 0x4
	v_dual_fmac_f32 v23, s11, v11 :: v_dual_fmac_f32 v54, s45, v12
	ds_load_2addr_b32 v[10:11], v20 offset0:76 offset1:77
	ds_load_2addr_b32 v[18:19], v20 offset0:78 offset1:79
	s_wait_dscnt 0x4
	v_fma_f32 v55, s19, v4, 0
	v_fmac_f32_e32 v21, s9, v2
	v_dual_fmac_f32 v23, s5, v30 :: v_dual_fmac_f32 v54, s43, v13
	ds_load_2addr_b32 v[12:13], v20 offset0:90 offset1:91
	ds_load_2addr_b32 v[2:3], v20 offset0:104 offset1:105
	v_dual_fmac_f32 v22, s9, v8 :: v_dual_fmac_f32 v55, s22, v5
	ds_load_2addr_b32 v[8:9], v20 offset0:120 offset1:121
	ds_load_2addr_b32 v[24:25], v20 offset0:92 offset1:93
	;; [unrolled: 1-line block ×3, first 2 shown]
	v_dual_fmac_f32 v23, s39, v31 :: v_dual_fmac_f32 v54, s21, v16
	s_wait_dscnt 0x7
	v_fma_f32 v5, s23, v6, 0
	v_fmac_f32_e32 v55, s42, v14
	s_delay_alu instid0(VALU_DEP_3)
	v_dual_fmac_f32 v23, s1, v28 :: v_dual_fmac_f32 v54, s48, v17
	ds_load_2addr_b32 v[16:17], v20 offset0:64 offset1:65
	v_fmac_f32_e32 v5, s22, v7
	v_fmac_f32_e32 v55, s15, v15
	ds_load_2addr_b32 v[14:15], v20 offset0:106 offset1:107
	ds_load_2addr_b32 v[28:29], v20 offset0:122 offset1:123
	;; [unrolled: 1-line block ×9, first 2 shown]
	s_wait_dscnt 0xe
	v_dual_fmac_f32 v5, s42, v12 :: v_dual_fmac_f32 v55, s41, v10
	s_wait_dscnt 0xd
	v_fma_f32 v7, s23, v2, 0
	s_wait_dscnt 0xc
	v_fma_f32 v56, s47, v8, 0
	v_dual_fmac_f32 v5, s15, v13 :: v_dual_fmac_f32 v55, s40, v11
	ds_load_2addr_b32 v[10:11], v20 offset0:80 offset1:81
	ds_load_2addr_b32 v[12:13], v20 offset0:96 offset1:97
	s_wait_dscnt 0xd
	v_dual_fmac_f32 v7, s14, v3 :: v_dual_fmac_f32 v5, s41, v24
	v_dual_fmac_f32 v56, s14, v9 :: v_dual_fmac_f32 v55, s13, v18
	s_wait_dscnt 0xa
	s_delay_alu instid0(VALU_DEP_2) | instskip(SKIP_1) | instid1(VALU_DEP_2)
	v_dual_fmac_f32 v54, s27, v16 :: v_dual_fmac_f32 v7, s12, v14
	s_wait_dscnt 0x9
	v_dual_fmac_f32 v5, s40, v25 :: v_dual_fmac_f32 v56, s12, v28
	s_delay_alu instid0(VALU_DEP_2) | instskip(NEXT) | instid1(VALU_DEP_3)
	v_dual_fmac_f32 v55, s49, v19 :: v_dual_fmac_f32 v54, s31, v17
	v_fmac_f32_e32 v7, s20, v15
	ds_load_2addr_b32 v[14:15], v20 offset0:82 offset1:83
	ds_load_2addr_b32 v[18:19], v20 offset0:84 offset1:85
	;; [unrolled: 1-line block ×3, first 2 shown]
	v_fmac_f32_e32 v56, s20, v29
	ds_load_2addr_b32 v[28:29], v20 offset0:112 offset1:113
	ds_load_2addr_b32 v[44:45], v20 offset0:128 offset1:129
	s_wait_dscnt 0xa
	v_dual_fmac_f32 v7, s18, v36 :: v_dual_fmac_f32 v5, s13, v26
	s_wait_dscnt 0x8
	v_dual_fmac_f32 v56, s18, v40 :: v_dual_fmac_f32 v54, s29, v30
	s_delay_alu instid0(VALU_DEP_2) | instskip(SKIP_1) | instid1(VALU_DEP_2)
	v_fmac_f32_e32 v7, s26, v37
	s_wait_dscnt 0x6
	v_dual_fmac_f32 v55, s50, v10 :: v_dual_fmac_f32 v56, s26, v41
	v_fmac_f32_e32 v5, s49, v27
	ds_load_2addr_b32 v[36:37], v20 offset0:114 offset1:115
	ds_load_2addr_b32 v[26:27], v20 offset0:98 offset1:99
	v_fmac_f32_e32 v7, s30, v38
	v_fmac_f32_e32 v56, s30, v42
	ds_load_2addr_b32 v[40:41], v20 offset0:130 offset1:131
	ds_load_2addr_b32 v[46:47], v20 offset0:100 offset1:101
	;; [unrolled: 1-line block ×3, first 2 shown]
	v_fmac_f32_e32 v55, s51, v11
	v_fmac_f32_e32 v54, s25, v31
	s_wait_dscnt 0xa
	v_dual_fmac_f32 v7, s28, v39 :: v_dual_fmac_f32 v5, s50, v12
	v_fmac_f32_e32 v56, s28, v43
	ds_load_2addr_b32 v[38:39], v20 offset0:116 offset1:117
	ds_load_2addr_b32 v[42:43], v20 offset0:118 offset1:119
	;; [unrolled: 1-line block ×4, first 2 shown]
	s_wait_dscnt 0xa
	v_dual_fmac_f32 v7, s24, v28 :: v_dual_fmac_f32 v5, s51, v13
	s_wait_dscnt 0x9
	v_dual_fmac_f32 v56, s24, v44 :: v_dual_fmac_f32 v55, s52, v14
	s_delay_alu instid0(VALU_DEP_2)
	v_dual_fmac_f32 v54, s35, v32 :: v_dual_fmac_f32 v7, s34, v29
	ds_load_b32 v3, v20 offset:544
	v_dual_fmac_f32 v56, s34, v45 :: v_dual_fmac_f32 v55, s53, v15
	s_wait_dscnt 0x8
	v_dual_fmac_f32 v5, s52, v26 :: v_dual_fmac_f32 v7, s10, v36
	s_wait_dscnt 0x7
	s_delay_alu instid0(VALU_DEP_2) | instskip(NEXT) | instid1(VALU_DEP_2)
	v_dual_fmac_f32 v54, s11, v33 :: v_dual_fmac_f32 v56, s10, v40
	v_dual_fmac_f32 v55, s54, v18 :: v_dual_fmac_f32 v5, s53, v27
	s_delay_alu instid0(VALU_DEP_2) | instskip(NEXT) | instid1(VALU_DEP_2)
	v_dual_fmac_f32 v7, s8, v37 :: v_dual_fmac_f32 v54, s5, v34
	v_dual_fmac_f32 v56, s8, v41 :: v_dual_fmac_f32 v55, s55, v19
	s_wait_dscnt 0x6
	s_delay_alu instid0(VALU_DEP_3) | instskip(SKIP_2) | instid1(VALU_DEP_2)
	v_fmac_f32_e32 v5, s54, v46
	s_wait_dscnt 0x4
	v_dual_fmac_f32 v7, s4, v38 :: v_dual_fmac_f32 v54, s39, v35
	v_dual_fmac_f32 v55, s56, v24 :: v_dual_fmac_f32 v5, s55, v47
	s_wait_dscnt 0x2
	s_delay_alu instid0(VALU_DEP_2) | instskip(NEXT) | instid1(VALU_DEP_2)
	v_dual_fmac_f32 v56, s4, v50 :: v_dual_fmac_f32 v7, s38, v39
	v_dual_fmac_f32 v54, s1, v4 :: v_dual_fmac_f32 v55, s46, v25
	s_delay_alu instid0(VALU_DEP_2) | instskip(NEXT) | instid1(VALU_DEP_1)
	v_dual_fmac_f32 v5, s56, v48 :: v_dual_fmac_f32 v56, s38, v51
	v_dual_fmac_f32 v7, s2, v42 :: v_dual_fmac_f32 v5, s46, v49
	s_wait_dscnt 0x1
	s_delay_alu instid0(VALU_DEP_1) | instskip(NEXT) | instid1(VALU_DEP_1)
	v_dual_fmac_f32 v56, s2, v52 :: v_dual_fmac_f32 v7, s0, v43
	v_dual_fmac_f32 v5, s3, v2 :: v_dual_fmac_f32 v56, s0, v53
	v_fmac_f32_e32 v55, s3, v6
	s_wait_dscnt 0x0
	s_delay_alu instid0(VALU_DEP_2)
	v_dual_fmac_f32 v7, s36, v8 :: v_dual_fmac_f32 v56, s36, v3
	s_clause 0x7
	global_store_b32 v[0:1], v21, off offset:64
	global_store_b32 v[0:1], v22, off offset:128
	;; [unrolled: 1-line block ×8, first 2 shown]
	s_endpgm
	.section	.rodata,"a",@progbits
	.p2align	6, 0x0
	.amdhsa_kernel _Z9conv_rowsPfPKfS1_iii
		.amdhsa_group_segment_fixed_size 2560
		.amdhsa_private_segment_fixed_size 0
		.amdhsa_kernarg_size 36
		.amdhsa_user_sgpr_count 2
		.amdhsa_user_sgpr_dispatch_ptr 0
		.amdhsa_user_sgpr_queue_ptr 0
		.amdhsa_user_sgpr_kernarg_segment_ptr 1
		.amdhsa_user_sgpr_dispatch_id 0
		.amdhsa_user_sgpr_kernarg_preload_length 0
		.amdhsa_user_sgpr_kernarg_preload_offset 0
		.amdhsa_user_sgpr_private_segment_size 0
		.amdhsa_wavefront_size32 1
		.amdhsa_uses_dynamic_stack 0
		.amdhsa_enable_private_segment 0
		.amdhsa_system_sgpr_workgroup_id_x 1
		.amdhsa_system_sgpr_workgroup_id_y 1
		.amdhsa_system_sgpr_workgroup_id_z 0
		.amdhsa_system_sgpr_workgroup_info 0
		.amdhsa_system_vgpr_workitem_id 1
		.amdhsa_next_free_vgpr 57
		.amdhsa_next_free_sgpr 57
		.amdhsa_named_barrier_count 0
		.amdhsa_reserve_vcc 0
		.amdhsa_float_round_mode_32 0
		.amdhsa_float_round_mode_16_64 0
		.amdhsa_float_denorm_mode_32 3
		.amdhsa_float_denorm_mode_16_64 3
		.amdhsa_fp16_overflow 0
		.amdhsa_memory_ordered 1
		.amdhsa_forward_progress 1
		.amdhsa_inst_pref_size 20
		.amdhsa_round_robin_scheduling 0
		.amdhsa_exception_fp_ieee_invalid_op 0
		.amdhsa_exception_fp_denorm_src 0
		.amdhsa_exception_fp_ieee_div_zero 0
		.amdhsa_exception_fp_ieee_overflow 0
		.amdhsa_exception_fp_ieee_underflow 0
		.amdhsa_exception_fp_ieee_inexact 0
		.amdhsa_exception_int_div_zero 0
	.end_amdhsa_kernel
	.text
.Lfunc_end0:
	.size	_Z9conv_rowsPfPKfS1_iii, .Lfunc_end0-_Z9conv_rowsPfPKfS1_iii
                                        ; -- End function
	.set _Z9conv_rowsPfPKfS1_iii.num_vgpr, 57
	.set _Z9conv_rowsPfPKfS1_iii.num_agpr, 0
	.set _Z9conv_rowsPfPKfS1_iii.numbered_sgpr, 57
	.set _Z9conv_rowsPfPKfS1_iii.num_named_barrier, 0
	.set _Z9conv_rowsPfPKfS1_iii.private_seg_size, 0
	.set _Z9conv_rowsPfPKfS1_iii.uses_vcc, 0
	.set _Z9conv_rowsPfPKfS1_iii.uses_flat_scratch, 0
	.set _Z9conv_rowsPfPKfS1_iii.has_dyn_sized_stack, 0
	.set _Z9conv_rowsPfPKfS1_iii.has_recursion, 0
	.set _Z9conv_rowsPfPKfS1_iii.has_indirect_call, 0
	.section	.AMDGPU.csdata,"",@progbits
; Kernel info:
; codeLenInByte = 2448
; TotalNumSgprs: 57
; NumVgprs: 57
; ScratchSize: 0
; MemoryBound: 0
; FloatMode: 240
; IeeeMode: 1
; LDSByteSize: 2560 bytes/workgroup (compile time only)
; SGPRBlocks: 0
; VGPRBlocks: 3
; NumSGPRsForWavesPerEU: 57
; NumVGPRsForWavesPerEU: 57
; NamedBarCnt: 0
; Occupancy: 16
; WaveLimiterHint : 0
; COMPUTE_PGM_RSRC2:SCRATCH_EN: 0
; COMPUTE_PGM_RSRC2:USER_SGPR: 2
; COMPUTE_PGM_RSRC2:TRAP_HANDLER: 0
; COMPUTE_PGM_RSRC2:TGID_X_EN: 1
; COMPUTE_PGM_RSRC2:TGID_Y_EN: 1
; COMPUTE_PGM_RSRC2:TGID_Z_EN: 0
; COMPUTE_PGM_RSRC2:TIDIG_COMP_CNT: 1
	.text
	.protected	_Z9conv_colsPfPKfS1_iii ; -- Begin function _Z9conv_colsPfPKfS1_iii
	.globl	_Z9conv_colsPfPKfS1_iii
	.p2align	8
	.type	_Z9conv_colsPfPKfS1_iii,@function
_Z9conv_colsPfPKfS1_iii:                ; @_Z9conv_colsPfPKfS1_iii
; %bb.0:
	s_load_b64 s[2:3], s[0:1], 0x1c
	s_bfe_u32 s4, ttmp6, 0x4000c
	s_bfe_u32 s6, ttmp6, 0x40010
	s_add_co_i32 s4, s4, 1
	s_and_b32 s5, ttmp6, 15
	s_mul_i32 s4, ttmp9, s4
	s_add_co_i32 s6, s6, 1
	s_add_co_i32 s5, s5, s4
	s_mul_i32 s4, ttmp7, s6
	s_bfe_u32 s6, ttmp6, 0x40004
	s_getreg_b32 s7, hwreg(HW_REG_IB_STS2, 6, 4)
	s_add_co_i32 s6, s6, s4
	s_cmp_eq_u32 s7, 0
	v_and_b32_e32 v7, 0x3ff, v0
	v_bfe_u32 v22, v0, 10, 10
	s_cselect_b32 s4, ttmp7, s6
	s_cselect_b32 s5, ttmp9, s5
	s_lshl_b32 s4, s4, 6
	v_lshl_add_u32 v0, s5, 4, v7
	v_add3_u32 v6, v22, s4, -8
	s_load_b128 s[4:7], s[0:1], 0x8
	s_wait_kmcnt 0x0
	s_lshl_b32 s14, s3, 3
	s_mov_b32 s8, exec_lo
	s_ashr_i32 s15, s14, 31
	v_mad_u32 v0, s3, v6, v0
	s_delay_alu instid0(VALU_DEP_1) | instskip(NEXT) | instid1(VALU_DEP_1)
	v_ashrrev_i32_e32 v1, 31, v0
	v_lshl_add_u64 v[2:3], v[0:1], 2, s[4:5]
	s_ashr_i32 s5, s3, 31
	s_mov_b32 s4, s3
	s_delay_alu instid0(SALU_CYCLE_1) | instskip(NEXT) | instid1(VALU_DEP_1)
	s_lshl_b64 s[4:5], s[4:5], 5
	v_lshl_add_u64 v[8:9], s[14:15], 2, v[2:3]
	s_delay_alu instid0(VALU_DEP_1) | instskip(NEXT) | instid1(VALU_DEP_1)
	v_add_nc_u64_e32 v[10:11], s[4:5], v[8:9]
	v_add_nc_u64_e32 v[12:13], s[4:5], v[10:11]
	s_delay_alu instid0(VALU_DEP_1) | instskip(NEXT) | instid1(VALU_DEP_1)
	v_add_nc_u64_e32 v[14:15], s[4:5], v[12:13]
	v_add_nc_u64_e32 v[16:17], s[4:5], v[14:15]
	;; [unrolled: 3-line block ×3, first 2 shown]
	s_delay_alu instid0(VALU_DEP_1)
	v_add_nc_u64_e32 v[4:5], s[4:5], v[20:21]
	s_clause 0x7
	global_load_b32 v23, v[8:9], off
	global_load_b32 v24, v[10:11], off
	;; [unrolled: 1-line block ×8, first 2 shown]
	s_wait_xcnt 0x7
	v_lshlrev_b32_e32 v8, 2, v22
	s_wait_xcnt 0x2
	s_delay_alu instid0(VALU_DEP_1)
	v_mad_u32_u24 v18, 0x144, v7, v8
	v_dual_mov_b32 v7, 0 :: v_dual_mov_b32 v8, 0
	s_wait_loadcnt 0x6
	ds_store_2addr_b32 v18, v23, v24 offset0:8 offset1:16
	s_wait_loadcnt 0x4
	ds_store_2addr_b32 v18, v25, v26 offset0:24 offset1:32
	;; [unrolled: 2-line block ×4, first 2 shown]
	v_cmpx_lt_i32_e32 -1, v6
	s_cbranch_execz .LBB1_2
; %bb.1:
	global_load_b32 v8, v[2:3], off
.LBB1_2:
	s_wait_xcnt 0x0
	s_or_b32 exec_lo, exec_lo, s8
	s_load_b64 s[42:43], s[0:1], 0x0
	v_add_nc_u32_e32 v2, 0x48, v6
	s_wait_xcnt 0x0
	s_mov_b32 s0, exec_lo
	s_wait_loadcnt 0x0
	ds_store_b32 v18, v8
	v_cmpx_gt_i32_e64 s2, v2
	s_cbranch_execz .LBB1_4
; %bb.3:
	v_add_nc_u64_e32 v[2:3], s[4:5], v[4:5]
	global_load_b32 v7, v[2:3], off
.LBB1_4:
	s_wait_xcnt 0x0
	s_or_b32 exec_lo, exec_lo, s0
	s_wait_loadcnt 0x0
	ds_store_b32 v18, v7 offset:288
	s_wait_dscnt 0x0
	s_barrier_signal -1
	s_barrier_wait -1
	s_load_b64 s[12:13], s[6:7], 0x3c
	ds_load_2addr_b32 v[8:9], v18 offset1:1
	s_clause 0x1
	s_load_b64 s[10:11], s[6:7], 0x38
	s_load_b64 s[8:9], s[6:7], 0x34
	ds_load_2addr_b32 v[6:7], v18 offset0:2 offset1:3
	s_clause 0x1
	s_load_b64 s[0:1], s[6:7], 0x20
	s_load_b64 s[4:5], s[6:7], 0x30
	ds_load_2addr_b32 v[2:3], v18 offset0:8 offset1:9
	ds_load_2addr_b32 v[10:11], v18 offset0:4 offset1:5
	;; [unrolled: 1-line block ×3, first 2 shown]
	s_clause 0x2
	s_load_b32 s51, s[6:7], 0x38
	s_load_b64 s[40:41], s[6:7], 0x3c
	s_load_b32 s49, s[6:7], 0x38
	ds_load_2addr_b32 v[12:13], v18 offset0:10 offset1:11
	s_clause 0x4
	s_load_b64 s[38:39], s[6:7], 0x2c
	s_load_b32 s54, s[6:7], 0x34
	s_load_b32 s48, s[6:7], 0x34
	s_load_b64 s[36:37], s[6:7], 0x28
	s_load_b64 s[30:31], s[6:7], 0x24
	ds_load_2addr_b32 v[14:15], v18 offset0:12 offset1:13
	ds_load_2addr_b32 v[16:17], v18 offset0:14 offset1:15
	s_clause 0x3
	s_load_b32 s55, s[6:7], 0x2c
	s_load_b32 s56, s[6:7], 0x30
	;; [unrolled: 1-line block ×4, first 2 shown]
	s_wait_kmcnt 0x0
	v_lshl_add_u64 v[0:1], v[0:1], 2, s[42:43]
	s_wait_dscnt 0x7
	v_fma_f32 v22, s13, v8, 0
	s_wait_dscnt 0x5
	v_fma_f32 v23, s13, v2, 0
	s_delay_alu instid0(VALU_DEP_1) | instskip(SKIP_1) | instid1(VALU_DEP_1)
	v_dual_fmac_f32 v22, s11, v9 :: v_dual_fmac_f32 v23, s11, v3
	s_wait_dscnt 0x2
	v_dual_fmac_f32 v22, s9, v6 :: v_dual_fmac_f32 v23, s9, v12
	s_delay_alu instid0(VALU_DEP_1)
	v_fmac_f32_e32 v22, s5, v7
	ds_load_2addr_b32 v[6:7], v18 offset0:16 offset1:17
	v_fmac_f32_e32 v23, s5, v13
	s_clause 0x3
	s_load_b32 s57, s[6:7], 0x28
	s_load_b32 s45, s[6:7], 0x28
	s_load_b64 s[22:23], s[6:7], 0x18
	s_load_b64 s[28:29], s[6:7], 0x1c
	ds_load_2addr_b32 v[20:21], v18 offset0:18 offset1:19
	s_clause 0x2
	s_load_b32 s58, s[6:7], 0x24
	s_load_b32 s47, s[6:7], 0x24
	;; [unrolled: 1-line block ×3, first 2 shown]
	s_wait_dscnt 0x3
	v_fmac_f32_e32 v23, s39, v14
	v_fmac_f32_e32 v22, s39, v10
	s_clause 0x3
	s_load_b64 s[20:21], s[6:7], 0x10
	s_load_b64 s[26:27], s[6:7], 0x14
	s_load_b32 s53, s[6:7], 0x1c
	s_load_b32 s44, s[6:7], 0x1c
	v_fmac_f32_e32 v23, s37, v15
	s_wait_dscnt 0x2
	s_delay_alu instid0(VALU_DEP_1) | instskip(SKIP_2) | instid1(VALU_DEP_2)
	v_dual_fmac_f32 v22, s37, v11 :: v_dual_fmac_f32 v23, s31, v16
	s_wait_dscnt 0x1
	v_fma_f32 v32, s13, v6, 0
	v_dual_fmac_f32 v22, s31, v4 :: v_dual_fmac_f32 v23, s1, v17
	s_delay_alu instid0(VALU_DEP_1)
	v_dual_fmac_f32 v32, s11, v7 :: v_dual_fmac_f32 v22, s1, v5
	ds_load_2addr_b32 v[8:9], v18 offset0:20 offset1:21
	ds_load_2addr_b32 v[4:5], v18 offset0:22 offset1:23
	s_clause 0x4
	s_load_b64 s[16:17], s[6:7], 0x8
	s_load_b64 s[18:19], s[6:7], 0xc
	s_load_b32 s39, s[6:7], 0x18
	s_load_b32 s11, s[6:7], 0x18
	s_load_b32 s5, s[6:7], 0x14
	s_wait_dscnt 0x2
	s_wait_kmcnt 0x0
	v_dual_fmac_f32 v32, s51, v20 :: v_dual_fmac_f32 v22, s29, v2
	s_clause 0x3
	s_load_b32 s31, s[6:7], 0x10
	s_load_b32 s2, s[6:7], 0x10
	;; [unrolled: 1-line block ×3, first 2 shown]
	s_load_b64 s[24:25], s[6:7], 0x4
	v_dual_fmac_f32 v32, s54, v21 :: v_dual_fmac_f32 v22, s23, v3
	ds_load_2addr_b32 v[2:3], v18 offset0:24 offset1:25
	v_fmac_f32_e32 v23, s29, v6
	s_clause 0x5
	s_load_b32 s29, s[6:7], 0x8
	s_load_b32 s37, s[6:7], 0xc
	;; [unrolled: 1-line block ×5, first 2 shown]
	s_load_b64 s[34:35], s[6:7], 0x0
	v_fmac_f32_e32 v22, s27, v12
	s_wait_dscnt 0x2
	s_delay_alu instid0(VALU_DEP_1) | instskip(NEXT) | instid1(VALU_DEP_1)
	v_dual_fmac_f32 v22, s21, v13 :: v_dual_fmac_f32 v32, s56, v8
	v_dual_fmac_f32 v22, s19, v14 :: v_dual_fmac_f32 v23, s23, v7
	s_delay_alu instid0(VALU_DEP_2)
	v_fmac_f32_e32 v32, s55, v9
	s_clause 0x2
	s_load_b32 s23, s[6:7], 0x4
	s_load_b32 s9, s[6:7], 0x4
	;; [unrolled: 1-line block ×3, first 2 shown]
	ds_load_2addr_b32 v[10:11], v18 offset0:26 offset1:27
	v_fmac_f32_e32 v22, s17, v15
	s_load_b32 s52, s[6:7], 0x14
	s_wait_dscnt 0x2
	v_fmac_f32_e32 v32, s57, v4
	v_fmac_f32_e32 v23, s27, v20
	ds_load_2addr_b32 v[12:13], v18 offset0:28 offset1:29
	ds_load_2addr_b32 v[14:15], v18 offset0:30 offset1:31
	s_wait_dscnt 0x3
	v_fma_f32 v19, s41, v2, 0
	s_wait_kmcnt 0x0
	v_dual_fmac_f32 v32, s58, v5 :: v_dual_fmac_f32 v22, s25, v16
	v_fmac_f32_e32 v23, s21, v21
	s_clause 0x1
	s_load_b32 s27, s[6:7], 0x0
	s_load_b32 s21, s[6:7], 0x0
	ds_load_2addr_b32 v[20:21], v18 offset0:32 offset1:33
	v_dual_fmac_f32 v32, s59, v2 :: v_dual_fmac_f32 v22, s35, v17
	v_fmac_f32_e32 v23, s19, v8
	ds_load_2addr_b32 v[16:17], v18 offset0:34 offset1:35
	s_load_b32 s19, s[6:7], 0x40
	v_dual_fmac_f32 v32, s53, v3 :: v_dual_fmac_f32 v19, s61, v3
	v_dual_fmac_f32 v22, s60, v6 :: v_dual_fmac_f32 v23, s17, v9
	s_wait_xcnt 0x0
	s_lshl_b32 s6, s3, 4
	s_wait_dscnt 0x4
	v_dual_fmac_f32 v32, s39, v10 :: v_dual_fmac_f32 v19, s51, v10
	v_lshl_add_u64 v[6:7], s[14:15], 2, v[0:1]
	s_ashr_i32 s7, s6, 31
	s_delay_alu instid0(VALU_DEP_2)
	v_dual_fmac_f32 v32, s52, v11 :: v_dual_fmac_f32 v19, s54, v11
	global_store_b32 v[6:7], v22, off
	ds_load_2addr_b32 v[10:11], v18 offset0:36 offset1:37
	ds_load_2addr_b32 v[8:9], v18 offset0:38 offset1:39
	s_wait_dscnt 0x3
	v_fma_f32 v34, s41, v20, 0
	v_fmac_f32_e32 v32, s31, v12
	v_fmac_f32_e32 v23, s25, v4
	;; [unrolled: 1-line block ×3, first 2 shown]
	s_wait_xcnt 0x0
	ds_load_2addr_b32 v[6:7], v18 offset0:40 offset1:41
	v_fmac_f32_e32 v34, s61, v21
	v_fmac_f32_e32 v32, s37, v13
	;; [unrolled: 1-line block ×4, first 2 shown]
	ds_load_2addr_b32 v[4:5], v18 offset0:56 offset1:57
	s_wait_dscnt 0x4
	v_dual_fmac_f32 v34, s49, v16 :: v_dual_fmac_f32 v32, s29, v14
	v_fmac_f32_e32 v23, s60, v2
	v_lshl_add_u64 v[2:3], s[6:7], 2, v[0:1]
	s_mul_i32 s6, s3, 24
	s_delay_alu instid0(VALU_DEP_3)
	v_dual_fmac_f32 v34, s48, v17 :: v_dual_fmac_f32 v32, s23, v15
	v_fmac_f32_e32 v19, s57, v14
	global_store_b32 v[2:3], v23, off
	s_wait_xcnt 0x0
	ds_load_2addr_b32 v[2:3], v18 offset0:48 offset1:49
	s_wait_dscnt 0x4
	s_wait_kmcnt 0x0
	v_dual_fmac_f32 v34, s50, v10 :: v_dual_fmac_f32 v32, s27, v20
	v_fmac_f32_e32 v19, s58, v15
	ds_load_2addr_b32 v[24:25], v18 offset0:42 offset1:43
	ds_load_2addr_b32 v[14:15], v18 offset0:50 offset1:51
	s_ashr_i32 s7, s6, 31
	s_wait_dscnt 0x4
	v_fma_f32 v35, s19, v6, 0
	v_lshl_add_u64 v[22:23], s[6:7], 2, v[0:1]
	v_dual_fmac_f32 v19, s59, v20 :: v_dual_fmac_f32 v34, s46, v11
	s_wait_dscnt 0x3
	v_fma_f32 v37, s19, v4, 0
	s_delay_alu instid0(VALU_DEP_2)
	v_fmac_f32_e32 v19, s53, v21
	ds_load_2addr_b32 v[20:21], v18 offset0:44 offset1:45
	ds_load_2addr_b32 v[12:13], v18 offset0:46 offset1:47
	;; [unrolled: 1-line block ×5, first 2 shown]
	global_store_b32 v[22:23], v32, off
	s_wait_xcnt 0x0
	ds_load_2addr_b32 v[22:23], v18 offset0:60 offset1:61
	ds_load_2addr_b32 v[32:33], v18 offset0:62 offset1:63
	v_dual_fmac_f32 v34, s45, v8 :: v_dual_fmac_f32 v37, s12, v5
	s_wait_dscnt 0x9
	v_fma_f32 v36, s19, v2, 0
	s_delay_alu instid0(VALU_DEP_1) | instskip(SKIP_2) | instid1(VALU_DEP_2)
	v_dual_fmac_f32 v19, s39, v16 :: v_dual_fmac_f32 v36, s40, v3
	v_fmac_f32_e32 v35, s40, v7
	s_wait_dscnt 0x7
	v_dual_fmac_f32 v19, s52, v17 :: v_dual_fmac_f32 v36, s10, v14
	s_delay_alu instid0(VALU_DEP_2) | instskip(NEXT) | instid1(VALU_DEP_2)
	v_fmac_f32_e32 v35, s49, v24
	v_fmac_f32_e32 v19, s31, v10
	s_wait_dscnt 0x4
	s_delay_alu instid0(VALU_DEP_3) | instskip(NEXT) | instid1(VALU_DEP_3)
	v_dual_fmac_f32 v37, s10, v26 :: v_dual_fmac_f32 v36, s8, v15
	v_fmac_f32_e32 v35, s48, v25
	s_delay_alu instid0(VALU_DEP_3) | instskip(SKIP_1) | instid1(VALU_DEP_3)
	v_dual_fmac_f32 v34, s47, v9 :: v_dual_fmac_f32 v19, s37, v11
	s_wait_dscnt 0x3
	v_dual_fmac_f32 v37, s8, v27 :: v_dual_fmac_f32 v36, s4, v28
	s_delay_alu instid0(VALU_DEP_2) | instskip(NEXT) | instid1(VALU_DEP_3)
	v_dual_fmac_f32 v35, s50, v20 :: v_dual_fmac_f32 v34, s33, v6
	v_fmac_f32_e32 v19, s29, v8
	ds_load_2addr_b32 v[10:11], v18 offset0:64 offset1:65
	v_fmac_f32_e32 v36, s38, v29
	v_dual_fmac_f32 v35, s46, v21 :: v_dual_fmac_f32 v34, s44, v7
	s_wait_dscnt 0x2
	v_dual_fmac_f32 v37, s4, v22 :: v_dual_fmac_f32 v19, s23, v9
	s_delay_alu instid0(VALU_DEP_2) | instskip(NEXT) | instid1(VALU_DEP_2)
	v_dual_fmac_f32 v36, s36, v30 :: v_dual_fmac_f32 v35, s45, v12
	v_dual_fmac_f32 v34, s11, v24 :: v_dual_fmac_f32 v37, s38, v23
	ds_load_2addr_b32 v[8:9], v18 offset0:66 offset1:67
	v_dual_fmac_f32 v36, s30, v31 :: v_dual_fmac_f32 v35, s47, v13
	s_wait_dscnt 0x2
	v_dual_fmac_f32 v34, s5, v25 :: v_dual_fmac_f32 v37, s36, v32
	s_delay_alu instid0(VALU_DEP_2) | instskip(NEXT) | instid1(VALU_DEP_2)
	v_dual_fmac_f32 v19, s27, v6 :: v_dual_fmac_f32 v36, s0, v4
	v_dual_fmac_f32 v35, s33, v2 :: v_dual_fmac_f32 v34, s2, v20
	s_delay_alu instid0(VALU_DEP_3)
	v_fmac_f32_e32 v37, s30, v33
	ds_load_2addr_b32 v[6:7], v18 offset0:68 offset1:69
	ds_load_2addr_b32 v[16:17], v18 offset0:70 offset1:71
	s_lshl_b32 s4, s3, 5
	v_dual_fmac_f32 v35, s44, v3 :: v_dual_fmac_f32 v36, s28, v5
	s_wait_dscnt 0x3
	v_dual_fmac_f32 v37, s0, v10 :: v_dual_fmac_f32 v34, s13, v21
	s_mul_i32 s0, s3, 40
	s_delay_alu instid0(VALU_DEP_2) | instskip(NEXT) | instid1(VALU_DEP_2)
	v_fmac_f32_e32 v35, s11, v14
	v_dual_fmac_f32 v36, s22, v26 :: v_dual_fmac_f32 v37, s28, v11
	s_delay_alu instid0(VALU_DEP_2) | instskip(SKIP_1) | instid1(VALU_DEP_2)
	v_dual_fmac_f32 v34, s1, v12 :: v_dual_fmac_f32 v35, s5, v15
	s_wait_dscnt 0x2
	v_dual_fmac_f32 v36, s26, v27 :: v_dual_fmac_f32 v37, s22, v8
	s_delay_alu instid0(VALU_DEP_2) | instskip(SKIP_4) | instid1(VALU_DEP_2)
	v_fmac_f32_e32 v34, s9, v13
	ds_load_b32 v8, v18 offset:288
	v_dual_fmac_f32 v35, s2, v28 :: v_dual_fmac_f32 v36, s20, v22
	v_dual_fmac_f32 v37, s26, v9 :: v_dual_fmac_f32 v34, s21, v2
	s_ashr_i32 s5, s4, 31
	v_dual_fmac_f32 v35, s13, v29 :: v_dual_fmac_f32 v36, s18, v23
	s_wait_dscnt 0x2
	s_delay_alu instid0(VALU_DEP_2) | instskip(SKIP_3) | instid1(VALU_DEP_3)
	v_fmac_f32_e32 v37, s20, v6
	v_lshl_add_u64 v[12:13], s[4:5], 2, v[0:1]
	s_lshl_b32 s2, s3, 6
	v_dual_fmac_f32 v35, s1, v30 :: v_dual_fmac_f32 v36, s16, v32
	v_fmac_f32_e32 v37, s18, v7
	s_ashr_i32 s1, s0, 31
	s_delay_alu instid0(SALU_CYCLE_1) | instskip(NEXT) | instid1(VALU_DEP_3)
	v_lshl_add_u64 v[2:3], s[0:1], 2, v[0:1]
	v_dual_fmac_f32 v36, s24, v33 :: v_dual_fmac_f32 v35, s9, v31
	s_wait_dscnt 0x1
	v_fmac_f32_e32 v37, s16, v16
	s_mul_i32 s0, s3, 48
	s_delay_alu instid0(SALU_CYCLE_1)
	s_ashr_i32 s1, s0, 31
	v_dual_fmac_f32 v35, s21, v4 :: v_dual_fmac_f32 v36, s34, v10
	v_lshl_add_u64 v[4:5], s[0:1], 2, v[0:1]
	s_mul_i32 s0, s3, 56
	v_fmac_f32_e32 v37, s24, v17
	s_ashr_i32 s1, s0, 31
	s_ashr_i32 s3, s2, 31
	v_lshl_add_u64 v[6:7], s[0:1], 2, v[0:1]
	v_lshl_add_u64 v[0:1], s[2:3], 2, v[0:1]
	s_wait_dscnt 0x0
	v_fmac_f32_e32 v37, s34, v8
	s_clause 0x4
	global_store_b32 v[12:13], v19, off
	global_store_b32 v[2:3], v34, off
	;; [unrolled: 1-line block ×5, first 2 shown]
	s_endpgm
	.section	.rodata,"a",@progbits
	.p2align	6, 0x0
	.amdhsa_kernel _Z9conv_colsPfPKfS1_iii
		.amdhsa_group_segment_fixed_size 5184
		.amdhsa_private_segment_fixed_size 0
		.amdhsa_kernarg_size 36
		.amdhsa_user_sgpr_count 2
		.amdhsa_user_sgpr_dispatch_ptr 0
		.amdhsa_user_sgpr_queue_ptr 0
		.amdhsa_user_sgpr_kernarg_segment_ptr 1
		.amdhsa_user_sgpr_dispatch_id 0
		.amdhsa_user_sgpr_kernarg_preload_length 0
		.amdhsa_user_sgpr_kernarg_preload_offset 0
		.amdhsa_user_sgpr_private_segment_size 0
		.amdhsa_wavefront_size32 1
		.amdhsa_uses_dynamic_stack 0
		.amdhsa_enable_private_segment 0
		.amdhsa_system_sgpr_workgroup_id_x 1
		.amdhsa_system_sgpr_workgroup_id_y 1
		.amdhsa_system_sgpr_workgroup_id_z 0
		.amdhsa_system_sgpr_workgroup_info 0
		.amdhsa_system_vgpr_workitem_id 1
		.amdhsa_next_free_vgpr 38
		.amdhsa_next_free_sgpr 62
		.amdhsa_named_barrier_count 0
		.amdhsa_reserve_vcc 0
		.amdhsa_float_round_mode_32 0
		.amdhsa_float_round_mode_16_64 0
		.amdhsa_float_denorm_mode_32 3
		.amdhsa_float_denorm_mode_16_64 3
		.amdhsa_fp16_overflow 0
		.amdhsa_memory_ordered 1
		.amdhsa_forward_progress 1
		.amdhsa_inst_pref_size 19
		.amdhsa_round_robin_scheduling 0
		.amdhsa_exception_fp_ieee_invalid_op 0
		.amdhsa_exception_fp_denorm_src 0
		.amdhsa_exception_fp_ieee_div_zero 0
		.amdhsa_exception_fp_ieee_overflow 0
		.amdhsa_exception_fp_ieee_underflow 0
		.amdhsa_exception_fp_ieee_inexact 0
		.amdhsa_exception_int_div_zero 0
	.end_amdhsa_kernel
	.text
.Lfunc_end1:
	.size	_Z9conv_colsPfPKfS1_iii, .Lfunc_end1-_Z9conv_colsPfPKfS1_iii
                                        ; -- End function
	.set _Z9conv_colsPfPKfS1_iii.num_vgpr, 38
	.set _Z9conv_colsPfPKfS1_iii.num_agpr, 0
	.set _Z9conv_colsPfPKfS1_iii.numbered_sgpr, 62
	.set _Z9conv_colsPfPKfS1_iii.num_named_barrier, 0
	.set _Z9conv_colsPfPKfS1_iii.private_seg_size, 0
	.set _Z9conv_colsPfPKfS1_iii.uses_vcc, 0
	.set _Z9conv_colsPfPKfS1_iii.uses_flat_scratch, 0
	.set _Z9conv_colsPfPKfS1_iii.has_dyn_sized_stack, 0
	.set _Z9conv_colsPfPKfS1_iii.has_recursion, 0
	.set _Z9conv_colsPfPKfS1_iii.has_indirect_call, 0
	.section	.AMDGPU.csdata,"",@progbits
; Kernel info:
; codeLenInByte = 2364
; TotalNumSgprs: 62
; NumVgprs: 38
; ScratchSize: 0
; MemoryBound: 0
; FloatMode: 240
; IeeeMode: 1
; LDSByteSize: 5184 bytes/workgroup (compile time only)
; SGPRBlocks: 0
; VGPRBlocks: 2
; NumSGPRsForWavesPerEU: 62
; NumVGPRsForWavesPerEU: 38
; NamedBarCnt: 0
; Occupancy: 16
; WaveLimiterHint : 0
; COMPUTE_PGM_RSRC2:SCRATCH_EN: 0
; COMPUTE_PGM_RSRC2:USER_SGPR: 2
; COMPUTE_PGM_RSRC2:TRAP_HANDLER: 0
; COMPUTE_PGM_RSRC2:TGID_X_EN: 1
; COMPUTE_PGM_RSRC2:TGID_Y_EN: 1
; COMPUTE_PGM_RSRC2:TGID_Z_EN: 0
; COMPUTE_PGM_RSRC2:TIDIG_COMP_CNT: 1
	.text
	.p2alignl 7, 3214868480
	.fill 96, 4, 3214868480
	.section	.AMDGPU.gpr_maximums,"",@progbits
	.set amdgpu.max_num_vgpr, 0
	.set amdgpu.max_num_agpr, 0
	.set amdgpu.max_num_sgpr, 0
	.text
	.type	__hip_cuid_e2cdb856aa0e57dc,@object ; @__hip_cuid_e2cdb856aa0e57dc
	.section	.bss,"aw",@nobits
	.globl	__hip_cuid_e2cdb856aa0e57dc
__hip_cuid_e2cdb856aa0e57dc:
	.byte	0                               ; 0x0
	.size	__hip_cuid_e2cdb856aa0e57dc, 1

	.ident	"AMD clang version 22.0.0git (https://github.com/RadeonOpenCompute/llvm-project roc-7.2.4 26084 f58b06dce1f9c15707c5f808fd002e18c2accf7e)"
	.section	".note.GNU-stack","",@progbits
	.addrsig
	.addrsig_sym __hip_cuid_e2cdb856aa0e57dc
	.amdgpu_metadata
---
amdhsa.kernels:
  - .args:
      - .actual_access:  write_only
        .address_space:  global
        .offset:         0
        .size:           8
        .value_kind:     global_buffer
      - .actual_access:  read_only
        .address_space:  global
        .offset:         8
        .size:           8
        .value_kind:     global_buffer
      - .actual_access:  read_only
        .address_space:  global
        .offset:         16
        .size:           8
        .value_kind:     global_buffer
      - .offset:         24
        .size:           4
        .value_kind:     by_value
      - .offset:         28
        .size:           4
        .value_kind:     by_value
      - .offset:         32
        .size:           4
        .value_kind:     by_value
    .group_segment_fixed_size: 2560
    .kernarg_segment_align: 8
    .kernarg_segment_size: 36
    .language:       OpenCL C
    .language_version:
      - 2
      - 0
    .max_flat_workgroup_size: 1024
    .name:           _Z9conv_rowsPfPKfS1_iii
    .private_segment_fixed_size: 0
    .sgpr_count:     57
    .sgpr_spill_count: 0
    .symbol:         _Z9conv_rowsPfPKfS1_iii.kd
    .uniform_work_group_size: 1
    .uses_dynamic_stack: false
    .vgpr_count:     57
    .vgpr_spill_count: 0
    .wavefront_size: 32
  - .args:
      - .actual_access:  write_only
        .address_space:  global
        .offset:         0
        .size:           8
        .value_kind:     global_buffer
      - .actual_access:  read_only
        .address_space:  global
        .offset:         8
        .size:           8
        .value_kind:     global_buffer
      - .actual_access:  read_only
        .address_space:  global
        .offset:         16
        .size:           8
        .value_kind:     global_buffer
      - .offset:         24
        .size:           4
        .value_kind:     by_value
      - .offset:         28
        .size:           4
        .value_kind:     by_value
      - .offset:         32
        .size:           4
        .value_kind:     by_value
    .group_segment_fixed_size: 5184
    .kernarg_segment_align: 8
    .kernarg_segment_size: 36
    .language:       OpenCL C
    .language_version:
      - 2
      - 0
    .max_flat_workgroup_size: 1024
    .name:           _Z9conv_colsPfPKfS1_iii
    .private_segment_fixed_size: 0
    .sgpr_count:     62
    .sgpr_spill_count: 0
    .symbol:         _Z9conv_colsPfPKfS1_iii.kd
    .uniform_work_group_size: 1
    .uses_dynamic_stack: false
    .vgpr_count:     38
    .vgpr_spill_count: 0
    .wavefront_size: 32
amdhsa.target:   amdgcn-amd-amdhsa--gfx1250
amdhsa.version:
  - 1
  - 2
...

	.end_amdgpu_metadata
